;; amdgpu-corpus repo=ROCm/rocFFT kind=compiled arch=gfx1201 opt=O3
	.text
	.amdgcn_target "amdgcn-amd-amdhsa--gfx1201"
	.amdhsa_code_object_version 6
	.protected	fft_rtc_fwd_len1122_factors_17_11_6_wgs_204_tpt_102_halfLds_half_op_CI_CI_unitstride_sbrr_dirReg ; -- Begin function fft_rtc_fwd_len1122_factors_17_11_6_wgs_204_tpt_102_halfLds_half_op_CI_CI_unitstride_sbrr_dirReg
	.globl	fft_rtc_fwd_len1122_factors_17_11_6_wgs_204_tpt_102_halfLds_half_op_CI_CI_unitstride_sbrr_dirReg
	.p2align	8
	.type	fft_rtc_fwd_len1122_factors_17_11_6_wgs_204_tpt_102_halfLds_half_op_CI_CI_unitstride_sbrr_dirReg,@function
fft_rtc_fwd_len1122_factors_17_11_6_wgs_204_tpt_102_halfLds_half_op_CI_CI_unitstride_sbrr_dirReg: ; @fft_rtc_fwd_len1122_factors_17_11_6_wgs_204_tpt_102_halfLds_half_op_CI_CI_unitstride_sbrr_dirReg
; %bb.0:
	s_clause 0x2
	s_load_b128 s[4:7], s[0:1], 0x0
	s_load_b128 s[8:11], s[0:1], 0x58
	;; [unrolled: 1-line block ×3, first 2 shown]
	v_mul_u32_u24_e32 v1, 0x283, v0
	v_mov_b32_e32 v3, 0
	v_mov_b32_e32 v7, 0
	;; [unrolled: 1-line block ×3, first 2 shown]
	s_delay_alu instid0(VALU_DEP_4) | instskip(NEXT) | instid1(VALU_DEP_4)
	v_lshrrev_b32_e32 v42, 16, v1
	v_mov_b32_e32 v10, v3
	s_delay_alu instid0(VALU_DEP_2) | instskip(SKIP_2) | instid1(VALU_DEP_1)
	v_lshl_add_u32 v9, ttmp9, 1, v42
	s_wait_kmcnt 0x0
	v_cmp_lt_u64_e64 s2, s[6:7], 2
	s_and_b32 vcc_lo, exec_lo, s2
	s_cbranch_vccnz .LBB0_8
; %bb.1:
	s_load_b64 s[2:3], s[0:1], 0x10
	v_mov_b32_e32 v7, 0
	v_mov_b32_e32 v8, 0
	s_delay_alu instid0(VALU_DEP_2)
	v_mov_b32_e32 v1, v7
	s_add_nc_u64 s[16:17], s[14:15], 8
	s_add_nc_u64 s[18:19], s[12:13], 8
	s_mov_b64 s[20:21], 1
	v_mov_b32_e32 v2, v8
	s_wait_kmcnt 0x0
	s_add_nc_u64 s[22:23], s[2:3], 8
	s_mov_b32 s3, 0
.LBB0_2:                                ; =>This Inner Loop Header: Depth=1
	s_load_b64 s[24:25], s[22:23], 0x0
                                        ; implicit-def: $vgpr5_vgpr6
	s_mov_b32 s2, exec_lo
	s_wait_kmcnt 0x0
	v_or_b32_e32 v4, s25, v10
	s_delay_alu instid0(VALU_DEP_1)
	v_cmpx_ne_u64_e32 0, v[3:4]
	s_wait_alu 0xfffe
	s_xor_b32 s26, exec_lo, s2
	s_cbranch_execz .LBB0_4
; %bb.3:                                ;   in Loop: Header=BB0_2 Depth=1
	s_cvt_f32_u32 s2, s24
	s_cvt_f32_u32 s27, s25
	s_sub_nc_u64 s[30:31], 0, s[24:25]
	s_wait_alu 0xfffe
	s_delay_alu instid0(SALU_CYCLE_1) | instskip(SKIP_1) | instid1(SALU_CYCLE_2)
	s_fmamk_f32 s2, s27, 0x4f800000, s2
	s_wait_alu 0xfffe
	v_s_rcp_f32 s2, s2
	s_delay_alu instid0(TRANS32_DEP_1) | instskip(SKIP_1) | instid1(SALU_CYCLE_2)
	s_mul_f32 s2, s2, 0x5f7ffffc
	s_wait_alu 0xfffe
	s_mul_f32 s27, s2, 0x2f800000
	s_wait_alu 0xfffe
	s_delay_alu instid0(SALU_CYCLE_2) | instskip(SKIP_1) | instid1(SALU_CYCLE_2)
	s_trunc_f32 s27, s27
	s_wait_alu 0xfffe
	s_fmamk_f32 s2, s27, 0xcf800000, s2
	s_cvt_u32_f32 s29, s27
	s_wait_alu 0xfffe
	s_delay_alu instid0(SALU_CYCLE_1) | instskip(SKIP_1) | instid1(SALU_CYCLE_2)
	s_cvt_u32_f32 s28, s2
	s_wait_alu 0xfffe
	s_mul_u64 s[34:35], s[30:31], s[28:29]
	s_wait_alu 0xfffe
	s_mul_hi_u32 s37, s28, s35
	s_mul_i32 s36, s28, s35
	s_mul_hi_u32 s2, s28, s34
	s_mul_i32 s33, s29, s34
	s_wait_alu 0xfffe
	s_add_nc_u64 s[36:37], s[2:3], s[36:37]
	s_mul_hi_u32 s27, s29, s34
	s_mul_hi_u32 s38, s29, s35
	s_add_co_u32 s2, s36, s33
	s_wait_alu 0xfffe
	s_add_co_ci_u32 s2, s37, s27
	s_mul_i32 s34, s29, s35
	s_add_co_ci_u32 s35, s38, 0
	s_wait_alu 0xfffe
	s_add_nc_u64 s[34:35], s[2:3], s[34:35]
	s_wait_alu 0xfffe
	v_add_co_u32 v4, s2, s28, s34
	s_delay_alu instid0(VALU_DEP_1) | instskip(SKIP_1) | instid1(VALU_DEP_1)
	s_cmp_lg_u32 s2, 0
	s_add_co_ci_u32 s29, s29, s35
	v_readfirstlane_b32 s28, v4
	s_wait_alu 0xfffe
	s_delay_alu instid0(VALU_DEP_1)
	s_mul_u64 s[30:31], s[30:31], s[28:29]
	s_wait_alu 0xfffe
	s_mul_hi_u32 s35, s28, s31
	s_mul_i32 s34, s28, s31
	s_mul_hi_u32 s2, s28, s30
	s_mul_i32 s33, s29, s30
	s_wait_alu 0xfffe
	s_add_nc_u64 s[34:35], s[2:3], s[34:35]
	s_mul_hi_u32 s27, s29, s30
	s_mul_hi_u32 s28, s29, s31
	s_wait_alu 0xfffe
	s_add_co_u32 s2, s34, s33
	s_add_co_ci_u32 s2, s35, s27
	s_mul_i32 s30, s29, s31
	s_add_co_ci_u32 s31, s28, 0
	s_wait_alu 0xfffe
	s_add_nc_u64 s[30:31], s[2:3], s[30:31]
	s_wait_alu 0xfffe
	v_add_co_u32 v6, s2, v4, s30
	s_delay_alu instid0(VALU_DEP_1) | instskip(SKIP_1) | instid1(VALU_DEP_1)
	s_cmp_lg_u32 s2, 0
	s_add_co_ci_u32 s2, s29, s31
	v_mul_hi_u32 v15, v9, v6
	s_wait_alu 0xfffe
	v_mad_co_u64_u32 v[4:5], null, v9, s2, 0
	v_mad_co_u64_u32 v[11:12], null, v10, v6, 0
	;; [unrolled: 1-line block ×3, first 2 shown]
	s_delay_alu instid0(VALU_DEP_3) | instskip(SKIP_1) | instid1(VALU_DEP_4)
	v_add_co_u32 v4, vcc_lo, v15, v4
	s_wait_alu 0xfffd
	v_add_co_ci_u32_e32 v5, vcc_lo, 0, v5, vcc_lo
	s_delay_alu instid0(VALU_DEP_2) | instskip(SKIP_1) | instid1(VALU_DEP_2)
	v_add_co_u32 v4, vcc_lo, v4, v11
	s_wait_alu 0xfffd
	v_add_co_ci_u32_e32 v4, vcc_lo, v5, v12, vcc_lo
	s_wait_alu 0xfffd
	v_add_co_ci_u32_e32 v5, vcc_lo, 0, v14, vcc_lo
	s_delay_alu instid0(VALU_DEP_2) | instskip(SKIP_1) | instid1(VALU_DEP_2)
	v_add_co_u32 v11, vcc_lo, v4, v13
	s_wait_alu 0xfffd
	v_add_co_ci_u32_e32 v6, vcc_lo, 0, v5, vcc_lo
	s_delay_alu instid0(VALU_DEP_2) | instskip(SKIP_1) | instid1(VALU_DEP_3)
	v_mul_lo_u32 v12, s25, v11
	v_mad_co_u64_u32 v[4:5], null, s24, v11, 0
	v_mul_lo_u32 v13, s24, v6
	s_delay_alu instid0(VALU_DEP_2) | instskip(NEXT) | instid1(VALU_DEP_2)
	v_sub_co_u32 v4, vcc_lo, v9, v4
	v_add3_u32 v5, v5, v13, v12
	s_delay_alu instid0(VALU_DEP_1) | instskip(SKIP_1) | instid1(VALU_DEP_1)
	v_sub_nc_u32_e32 v12, v10, v5
	s_wait_alu 0xfffd
	v_subrev_co_ci_u32_e64 v12, s2, s25, v12, vcc_lo
	v_add_co_u32 v13, s2, v11, 2
	s_wait_alu 0xf1ff
	v_add_co_ci_u32_e64 v14, s2, 0, v6, s2
	v_sub_co_u32 v15, s2, v4, s24
	v_sub_co_ci_u32_e32 v5, vcc_lo, v10, v5, vcc_lo
	s_wait_alu 0xf1ff
	v_subrev_co_ci_u32_e64 v12, s2, 0, v12, s2
	s_delay_alu instid0(VALU_DEP_3) | instskip(NEXT) | instid1(VALU_DEP_3)
	v_cmp_le_u32_e32 vcc_lo, s24, v15
	v_cmp_eq_u32_e64 s2, s25, v5
	s_wait_alu 0xfffd
	v_cndmask_b32_e64 v15, 0, -1, vcc_lo
	v_cmp_le_u32_e32 vcc_lo, s25, v12
	s_wait_alu 0xfffd
	v_cndmask_b32_e64 v16, 0, -1, vcc_lo
	v_cmp_le_u32_e32 vcc_lo, s24, v4
	;; [unrolled: 3-line block ×3, first 2 shown]
	s_wait_alu 0xfffd
	v_cndmask_b32_e64 v17, 0, -1, vcc_lo
	v_cmp_eq_u32_e32 vcc_lo, s25, v12
	s_wait_alu 0xf1ff
	s_delay_alu instid0(VALU_DEP_2)
	v_cndmask_b32_e64 v4, v17, v4, s2
	s_wait_alu 0xfffd
	v_cndmask_b32_e32 v12, v16, v15, vcc_lo
	v_add_co_u32 v15, vcc_lo, v11, 1
	s_wait_alu 0xfffd
	v_add_co_ci_u32_e32 v16, vcc_lo, 0, v6, vcc_lo
	s_delay_alu instid0(VALU_DEP_3) | instskip(SKIP_1) | instid1(VALU_DEP_2)
	v_cmp_ne_u32_e32 vcc_lo, 0, v12
	s_wait_alu 0xfffd
	v_dual_cndmask_b32 v5, v16, v14 :: v_dual_cndmask_b32 v12, v15, v13
	v_cmp_ne_u32_e32 vcc_lo, 0, v4
	s_wait_alu 0xfffd
	s_delay_alu instid0(VALU_DEP_2)
	v_dual_cndmask_b32 v6, v6, v5 :: v_dual_cndmask_b32 v5, v11, v12
.LBB0_4:                                ;   in Loop: Header=BB0_2 Depth=1
	s_wait_alu 0xfffe
	s_and_not1_saveexec_b32 s2, s26
	s_cbranch_execz .LBB0_6
; %bb.5:                                ;   in Loop: Header=BB0_2 Depth=1
	v_cvt_f32_u32_e32 v4, s24
	s_sub_co_i32 s26, 0, s24
	s_delay_alu instid0(VALU_DEP_1) | instskip(NEXT) | instid1(TRANS32_DEP_1)
	v_rcp_iflag_f32_e32 v4, v4
	v_mul_f32_e32 v4, 0x4f7ffffe, v4
	s_delay_alu instid0(VALU_DEP_1) | instskip(SKIP_1) | instid1(VALU_DEP_1)
	v_cvt_u32_f32_e32 v4, v4
	s_wait_alu 0xfffe
	v_mul_lo_u32 v5, s26, v4
	s_delay_alu instid0(VALU_DEP_1) | instskip(NEXT) | instid1(VALU_DEP_1)
	v_mul_hi_u32 v5, v4, v5
	v_add_nc_u32_e32 v4, v4, v5
	s_delay_alu instid0(VALU_DEP_1) | instskip(NEXT) | instid1(VALU_DEP_1)
	v_mul_hi_u32 v4, v9, v4
	v_mul_lo_u32 v5, v4, s24
	v_add_nc_u32_e32 v6, 1, v4
	s_delay_alu instid0(VALU_DEP_2) | instskip(NEXT) | instid1(VALU_DEP_1)
	v_sub_nc_u32_e32 v5, v9, v5
	v_subrev_nc_u32_e32 v11, s24, v5
	v_cmp_le_u32_e32 vcc_lo, s24, v5
	s_wait_alu 0xfffd
	s_delay_alu instid0(VALU_DEP_2) | instskip(NEXT) | instid1(VALU_DEP_1)
	v_dual_cndmask_b32 v5, v5, v11 :: v_dual_cndmask_b32 v4, v4, v6
	v_cmp_le_u32_e32 vcc_lo, s24, v5
	s_delay_alu instid0(VALU_DEP_2) | instskip(SKIP_1) | instid1(VALU_DEP_1)
	v_add_nc_u32_e32 v6, 1, v4
	s_wait_alu 0xfffd
	v_dual_cndmask_b32 v5, v4, v6 :: v_dual_mov_b32 v6, v3
.LBB0_6:                                ;   in Loop: Header=BB0_2 Depth=1
	s_wait_alu 0xfffe
	s_or_b32 exec_lo, exec_lo, s2
	s_delay_alu instid0(VALU_DEP_1) | instskip(NEXT) | instid1(VALU_DEP_2)
	v_mul_lo_u32 v4, v6, s24
	v_mul_lo_u32 v13, v5, s25
	s_load_b64 s[26:27], s[18:19], 0x0
	v_mad_co_u64_u32 v[11:12], null, v5, s24, 0
	s_load_b64 s[24:25], s[16:17], 0x0
	s_add_nc_u64 s[20:21], s[20:21], 1
	s_add_nc_u64 s[16:17], s[16:17], 8
	s_wait_alu 0xfffe
	v_cmp_ge_u64_e64 s2, s[20:21], s[6:7]
	s_add_nc_u64 s[18:19], s[18:19], 8
	s_add_nc_u64 s[22:23], s[22:23], 8
	v_add3_u32 v4, v12, v13, v4
	v_sub_co_u32 v9, vcc_lo, v9, v11
	s_wait_alu 0xfffd
	s_delay_alu instid0(VALU_DEP_2) | instskip(SKIP_2) | instid1(VALU_DEP_1)
	v_sub_co_ci_u32_e32 v4, vcc_lo, v10, v4, vcc_lo
	s_and_b32 vcc_lo, exec_lo, s2
	s_wait_kmcnt 0x0
	v_mul_lo_u32 v10, s26, v4
	v_mul_lo_u32 v11, s27, v9
	v_mad_co_u64_u32 v[7:8], null, s26, v9, v[7:8]
	v_mul_lo_u32 v4, s24, v4
	v_mul_lo_u32 v12, s25, v9
	v_mad_co_u64_u32 v[1:2], null, s24, v9, v[1:2]
	s_delay_alu instid0(VALU_DEP_4) | instskip(NEXT) | instid1(VALU_DEP_2)
	v_add3_u32 v8, v11, v8, v10
	v_add3_u32 v2, v12, v2, v4
	s_wait_alu 0xfffe
	s_cbranch_vccnz .LBB0_9
; %bb.7:                                ;   in Loop: Header=BB0_2 Depth=1
	v_dual_mov_b32 v10, v6 :: v_dual_mov_b32 v9, v5
	s_branch .LBB0_2
.LBB0_8:
	v_dual_mov_b32 v1, v7 :: v_dual_mov_b32 v2, v8
	v_dual_mov_b32 v5, v9 :: v_dual_mov_b32 v6, v10
.LBB0_9:
	s_load_b64 s[0:1], s[0:1], 0x28
	v_mul_hi_u32 v3, 0x2828283, v0
	v_mov_b32_e32 v21, 0
	v_mov_b32_e32 v39, 0
	s_lshl_b64 s[2:3], s[6:7], 3
                                        ; implicit-def: $vgpr26
                                        ; implicit-def: $vgpr31
                                        ; implicit-def: $vgpr25
                                        ; implicit-def: $vgpr32
                                        ; implicit-def: $vgpr24
                                        ; implicit-def: $vgpr4
                                        ; implicit-def: $vgpr23
                                        ; implicit-def: $vgpr30
                                        ; implicit-def: $vgpr22
                                        ; implicit-def: $vgpr9
                                        ; implicit-def: $vgpr20
                                        ; implicit-def: $vgpr27
                                        ; implicit-def: $vgpr19
                                        ; implicit-def: $vgpr28
                                        ; implicit-def: $vgpr17
                                        ; implicit-def: $vgpr29
                                        ; implicit-def: $vgpr10
                                        ; implicit-def: $vgpr41
                                        ; implicit-def: $vgpr11
                                        ; implicit-def: $vgpr40
                                        ; implicit-def: $vgpr12
                                        ; implicit-def: $vgpr38
                                        ; implicit-def: $vgpr13
                                        ; implicit-def: $vgpr37
                                        ; implicit-def: $vgpr14
                                        ; implicit-def: $vgpr36
                                        ; implicit-def: $vgpr15
                                        ; implicit-def: $vgpr35
                                        ; implicit-def: $vgpr16
                                        ; implicit-def: $vgpr34
                                        ; implicit-def: $vgpr18
                                        ; implicit-def: $vgpr33
	s_delay_alu instid0(VALU_DEP_3) | instskip(NEXT) | instid1(VALU_DEP_1)
	v_mul_u32_u24_e32 v3, 0x66, v3
	v_sub_nc_u32_e32 v3, v0, v3
	s_wait_kmcnt 0x0
	v_cmp_gt_u64_e32 vcc_lo, s[0:1], v[5:6]
	s_delay_alu instid0(VALU_DEP_2) | instskip(NEXT) | instid1(VALU_DEP_1)
	v_cmp_gt_u32_e64 s0, 0x42, v3
	s_and_b32 s1, vcc_lo, s0
	s_wait_alu 0xfffe
	s_and_saveexec_b32 s6, s1
	s_cbranch_execz .LBB0_11
; %bb.10:
	s_add_nc_u64 s[12:13], s[12:13], s[2:3]
	v_lshlrev_b64_e32 v[7:8], 2, v[7:8]
	s_load_b64 s[12:13], s[12:13], 0x0
	s_wait_kmcnt 0x0
	v_mul_lo_u32 v0, s13, v5
	v_mul_lo_u32 v4, s12, v6
	v_mad_co_u64_u32 v[9:10], null, s12, v5, 0
	s_delay_alu instid0(VALU_DEP_1) | instskip(SKIP_1) | instid1(VALU_DEP_2)
	v_add3_u32 v10, v10, v4, v0
	v_mov_b32_e32 v4, 0
	v_lshlrev_b64_e32 v[9:10], 2, v[9:10]
	s_delay_alu instid0(VALU_DEP_1) | instskip(SKIP_1) | instid1(VALU_DEP_2)
	v_add_co_u32 v0, s1, s8, v9
	s_wait_alu 0xf1ff
	v_add_co_ci_u32_e64 v11, s1, s9, v10, s1
	v_lshlrev_b64_e32 v[9:10], 2, v[3:4]
	s_delay_alu instid0(VALU_DEP_3) | instskip(SKIP_1) | instid1(VALU_DEP_3)
	v_add_co_u32 v0, s1, v0, v7
	s_wait_alu 0xf1ff
	v_add_co_ci_u32_e64 v4, s1, v11, v8, s1
	s_delay_alu instid0(VALU_DEP_2) | instskip(SKIP_1) | instid1(VALU_DEP_2)
	v_add_co_u32 v7, s1, v0, v9
	s_wait_alu 0xf1ff
	v_add_co_ci_u32_e64 v8, s1, v4, v10, s1
	s_clause 0x10
	global_load_b32 v39, v[7:8], off
	global_load_b32 v31, v[7:8], off offset:264
	global_load_b32 v32, v[7:8], off offset:528
	;; [unrolled: 1-line block ×16, first 2 shown]
	s_wait_loadcnt 0x10
	v_lshrrev_b32_e32 v21, 16, v39
	s_wait_loadcnt 0xf
	v_lshrrev_b32_e32 v26, 16, v31
	;; [unrolled: 2-line block ×17, first 2 shown]
.LBB0_11:
	s_wait_alu 0xfffe
	s_or_b32 exec_lo, exec_lo, s6
	v_add_f16_e32 v55, v31, v41
	s_delay_alu instid0(VALU_DEP_2)
	v_sub_f16_e32 v44, v26, v10
	v_add_f16_e32 v51, v32, v40
	v_sub_f16_e32 v8, v25, v11
	v_add_f16_e32 v47, v4, v38
	v_mul_f16_e32 v65, 0xb8d2, v55
	v_sub_f16_e32 v43, v24, v12
	v_mul_f16_e32 v64, 0xb461, v51
	v_add_f16_e32 v48, v30, v37
	v_mul_f16_e32 v63, 0x3b76, v47
	v_fmamk_f16 v0, v44, 0xba62, v65
	v_sub_f16_e32 v45, v23, v13
	v_fmamk_f16 v7, v8, 0x3bb2, v64
	v_add_f16_e32 v52, v9, v36
	v_mul_f16_e32 v62, 0xbacd, v48
	v_add_f16_e32 v0, v39, v0
	v_fmamk_f16 v46, v43, 0xb5c8, v63
	v_sub_f16_e32 v49, v22, v14
	v_add_f16_e32 v54, v27, v35
	v_mul_f16_e32 v61, 0x2de8, v52
	v_add_f16_e32 v0, v0, v7
	v_fmamk_f16 v7, v45, 0xb836, v62
	v_sub_f16_e32 v53, v20, v15
	v_mul_f16_e32 v60, 0x39e9, v54
	v_fmamk_f16 v50, v49, 0x3bf7, v61
	v_add_f16_e32 v0, v0, v46
	v_add_f16_e32 v56, v28, v34
	v_sub_f16_e32 v46, v19, v16
	v_add_f16_e32 v57, v29, v33
	s_delay_alu instid0(VALU_DEP_4) | instskip(SKIP_2) | instid1(VALU_DEP_4)
	v_add_f16_e32 v0, v0, v7
	v_fmamk_f16 v7, v53, 0xb964, v60
	v_mul_f16_e32 v59, 0xbbdd, v56
	v_mul_f16_e32 v58, 0x3722, v57
	s_delay_alu instid0(VALU_DEP_4) | instskip(SKIP_1) | instid1(VALU_DEP_4)
	v_add_f16_e32 v0, v0, v50
	v_sub_f16_e32 v50, v17, v18
	v_fmamk_f16 v66, v46, 0xb1e1, v59
	s_delay_alu instid0(VALU_DEP_3) | instskip(SKIP_1) | instid1(VALU_DEP_4)
	v_add_f16_e32 v0, v0, v7
	v_and_b32_e32 v7, 1, v42
	v_fmamk_f16 v42, v50, 0x3b29, v58
	s_delay_alu instid0(VALU_DEP_3) | instskip(NEXT) | instid1(VALU_DEP_3)
	v_add_f16_e32 v0, v0, v66
	v_cmp_eq_u32_e64 s1, 1, v7
	s_delay_alu instid0(VALU_DEP_2) | instskip(SKIP_1) | instid1(VALU_DEP_2)
	v_add_f16_e32 v7, v0, v42
	s_wait_alu 0xf1ff
	v_cndmask_b32_e64 v66, 0, 0x462, s1
	s_delay_alu instid0(VALU_DEP_1)
	v_lshlrev_b32_e32 v0, 1, v66
	s_and_saveexec_b32 s1, s0
	s_cbranch_execz .LBB0_13
; %bb.12:
	v_pk_mul_f16 v86, 0xb964b5c8, v44 op_sel_hi:[1,0]
	v_pk_mul_f16 v92, 0xbbf7b964, v8 op_sel_hi:[1,0]
	;; [unrolled: 1-line block ×5, first 2 shown]
	v_fmamk_f16 v91, v55, 0x3b76, v86
	v_fmamk_f16 v96, v51, 0x39e9, v92
	v_pk_fma_f16 v86, 0x39e93b76, v55, v86 op_sel_hi:[1,0,1] neg_lo:[0,0,1] neg_hi:[0,0,1]
	v_pk_fma_f16 v92, 0x2de839e9, v51, v92 op_sel_hi:[1,0,1] neg_lo:[0,0,1] neg_hi:[0,0,1]
	v_mul_f16_e32 v42, 0xba62, v44
	v_add_f16_e32 v91, v39, v91
	v_mul_f16_e32 v81, 0xb461, v55
	v_pk_add_f16 v86, v39, v86 op_sel_hi:[0,1]
	v_mul_f16_e32 v82, 0xbbb2, v44
	v_pk_mul_f16 v103, 0x3bb2ba62, v53 op_sel_hi:[1,0]
	v_add_f16_e32 v91, v91, v96
	v_fmamk_f16 v96, v47, 0x3722, v97
	v_pk_add_f16 v86, v86, v92
	v_pk_fma_f16 v92, 0xb8d23722, v47, v97 op_sel_hi:[1,0,1] neg_lo:[0,0,1] neg_hi:[0,0,1]
	v_mul_f16_e32 v66, 0x3bb2, v8
	v_mul_f16_e32 v83, 0xbacd, v51
	v_add_f16_e32 v91, v91, v96
	v_fmamk_f16 v96, v48, 0x2de8, v100
	v_pk_add_f16 v86, v86, v92
	v_pk_fma_f16 v92, 0xbbdd2de8, v48, v100 op_sel_hi:[1,0,1] neg_lo:[0,0,1] neg_hi:[0,0,1]
	v_mul_f16_e32 v84, 0x3836, v8
	v_pk_mul_f16 v99, 0xbbf7bb29, v44 op_sel_hi:[1,0]
	v_add_f16_e32 v91, v91, v96
	v_fmamk_f16 v96, v52, 0xb461, v102
	v_pk_mul_f16 v104, 0x3b29b836, v46 op_sel_hi:[1,0]
	v_pk_add_f16 v86, v86, v92
	v_pk_fma_f16 v92, 0xbacdb461, v52, v102 op_sel_hi:[1,0,1] neg_lo:[0,0,1] neg_hi:[0,0,1]
	v_perm_b32 v65, v65, v81, 0x5040100
	v_add_f16_e32 v91, v91, v96
	v_fmamk_f16 v96, v54, 0xb8d2, v103
	v_perm_b32 v42, v42, v82, 0x5040100
	v_mul_f16_e32 v67, 0xb5c8, v43
	v_mul_f16_e32 v85, 0x39e9, v47
	;; [unrolled: 1-line block ×3, first 2 shown]
	v_pk_mul_f16 v101, 0xb1e1ba62, v8 op_sel_hi:[1,0]
	v_add_f16_e32 v91, v91, v96
	v_fmamk_f16 v96, v56, 0xbacd, v104
	v_pk_mul_f16 v102, 0x35c8b1e1, v50 op_sel_hi:[1,0]
	v_pk_add_f16 v86, v86, v92
	v_pk_fma_f16 v92, 0xb461b8d2, v54, v103 op_sel_hi:[1,0,1] neg_lo:[0,0,1] neg_hi:[0,0,1]
	v_pk_fma_f16 v103, 0x2de83722, v55, v99 op_sel_hi:[1,0,1] neg_lo:[0,0,1] neg_hi:[0,0,1]
	v_pk_add_f16 v42, v65, v42 neg_lo:[0,1] neg_hi:[0,1]
	v_perm_b32 v64, v64, v83, 0x5040100
	v_perm_b32 v66, v66, v84, 0x5040100
	v_mul_f16_e32 v68, 0xb836, v45
	v_mul_f16_e32 v88, 0x3722, v48
	;; [unrolled: 1-line block ×3, first 2 shown]
	v_pk_mul_f16 v97, 0x3bb231e1, v43 op_sel_hi:[1,0]
	v_add_f16_e32 v91, v91, v96
	v_fmamk_f16 v96, v57, 0xbbdd, v102
	v_pk_add_f16 v86, v86, v92
	v_pk_fma_f16 v92, 0x3722bacd, v56, v104 op_sel_hi:[1,0,1] neg_lo:[0,0,1] neg_hi:[0,0,1]
	v_pk_add_f16 v103, v39, v103 op_sel_hi:[0,1]
	v_pk_fma_f16 v104, 0xbbddb8d2, v51, v101 op_sel_hi:[1,0,1] neg_lo:[0,0,1] neg_hi:[0,0,1]
	v_pk_add_f16 v42, v39, v42 op_sel_hi:[0,1]
	v_pk_add_f16 v64, v64, v66 neg_lo:[0,1] neg_hi:[0,1]
	v_perm_b32 v63, v63, v85, 0x5040100
	v_perm_b32 v66, v67, v87, 0x5040100
	v_mul_f16_e32 v69, 0x3bf7, v49
	v_mul_f16_e32 v90, 0xbbdd, v52
	;; [unrolled: 1-line block ×3, first 2 shown]
	v_add_f16_e32 v91, v91, v96
	v_pk_mul_f16 v96, 0x35c83bb2, v45 op_sel_hi:[1,0]
	v_pk_add_f16 v86, v86, v92
	v_pk_add_f16 v92, v103, v104
	v_pk_fma_f16 v103, 0xb461bbdd, v47, v97 op_sel_hi:[1,0,1] neg_lo:[0,0,1] neg_hi:[0,0,1]
	v_pk_add_f16 v42, v42, v64
	v_pk_add_f16 v63, v63, v66 neg_lo:[0,1] neg_hi:[0,1]
	v_perm_b32 v62, v62, v88, 0x5040100
	v_perm_b32 v66, v68, v89, 0x5040100
	v_pk_mul_f16 v73, 0xbbddbacd, v55 op_sel_hi:[1,0]
	v_pk_add_f16 v92, v92, v103
	v_pk_fma_f16 v103, 0x3b76b461, v48, v96 op_sel_hi:[1,0,1] neg_lo:[0,0,1] neg_hi:[0,0,1]
	v_pk_mul_f16 v64, 0xbb293964, v49 op_sel_hi:[1,0]
	v_pk_add_f16 v42, v42, v63
	v_pk_add_f16 v62, v62, v66 neg_lo:[0,1] neg_hi:[0,1]
	v_perm_b32 v61, v61, v90, 0x5040100
	v_perm_b32 v69, v69, v93, 0x5040100
	v_add_f16_e32 v100, v39, v31
	v_mul_f16_e32 v70, 0xb964, v53
	v_pk_mul_f16 v74, 0x3b763722, v51 op_sel_hi:[1,0]
	v_mul_f16_e32 v94, 0x2de8, v54
	v_mul_f16_e32 v95, 0x3bf7, v53
	v_pk_add_f16 v92, v92, v103
	v_pk_fma_f16 v63, 0x372239e9, v52, v64 op_sel_hi:[1,0,1] neg_lo:[0,0,1] neg_hi:[0,0,1]
	v_pk_mul_f16 v66, 0xb836b5c8, v53 op_sel_hi:[1,0]
	v_pk_add_f16 v42, v42, v62
	v_pk_add_f16 v61, v61, v69 neg_lo:[0,1] neg_hi:[0,1]
	v_pk_fma_f16 v69, 0xb1e1b836, v44, v73 op_sel_hi:[1,0,1] neg_lo:[0,1,0] neg_hi:[0,1,0]
	v_add_f16_e32 v100, v100, v32
	v_mul_f16_e32 v71, 0xb1e1, v46
	v_mul_f16_e32 v98, 0x3b76, v56
	;; [unrolled: 1-line block ×3, first 2 shown]
	v_pk_add_f16 v63, v92, v63
	v_pk_fma_f16 v92, 0xbacd3b76, v54, v66 op_sel_hi:[1,0,1] neg_lo:[0,0,1] neg_hi:[0,0,1]
	v_pk_mul_f16 v62, 0x3a62bbf7, v46 op_sel_hi:[1,0]
	v_perm_b32 v60, v60, v94, 0x5040100
	v_perm_b32 v70, v70, v95, 0x5040100
	v_pk_add_f16 v42, v42, v61
	v_pk_add_f16 v61, v39, v69 op_sel_hi:[0,1]
	v_pk_fma_f16 v69, 0x35c83b29, v8, v74 op_sel_hi:[1,0,1] neg_lo:[0,1,0] neg_hi:[0,1,0]
	v_add_f16_e32 v100, v100, v4
	v_pk_mul_f16 v75, 0xbacd2de8, v47 op_sel_hi:[1,0]
	v_pk_add_f16 v63, v63, v92
	v_pk_add_f16 v60, v60, v70 neg_lo:[0,1] neg_hi:[0,1]
	v_pk_fma_f16 v70, 0xb8d22de8, v56, v62 op_sel_hi:[1,0,1] neg_lo:[0,0,1] neg_hi:[0,0,1]
	v_pk_add_f16 v61, v61, v69
	v_pk_mul_f16 v69, 0x3964b836, v50 op_sel_hi:[1,0]
	v_perm_b32 v59, v59, v98, 0x5040100
	v_perm_b32 v71, v71, v104, 0x5040100
	v_add_f16_e32 v100, v100, v30
	v_pk_mul_f16 v76, 0x39e9b8d2, v48 op_sel_hi:[1,0]
	v_pk_add_f16 v63, v63, v70
	v_pk_fma_f16 v70, 0xb836bbf7, v43, v75 op_sel_hi:[1,0,1] neg_lo:[0,1,0] neg_hi:[0,1,0]
	v_pk_add_f16 v42, v42, v60
	v_pk_fma_f16 v60, 0x39e9bacd, v57, v69 op_sel_hi:[1,0,1] neg_lo:[0,0,1] neg_hi:[0,0,1]
	v_pk_add_f16 v71, v59, v71 neg_lo:[0,1] neg_hi:[0,1]
	v_pk_fma_f16 v73, 0xb1e1b836, v44, v73 op_sel_hi:[1,0,1]
	v_add_f16_e32 v100, v100, v9
	v_pk_mul_f16 v77, 0xb8d23b76, v52 op_sel_hi:[1,0]
	v_pk_mul_f16 v67, 0x2de83722, v55 op_sel_hi:[1,0]
	v_pk_add_f16 v61, v61, v70
	v_pk_add_f16 v60, v63, v60
	v_pk_fma_f16 v63, 0x39643a62, v45, v76 op_sel_hi:[1,0,1] neg_lo:[0,1,0] neg_hi:[0,1,0]
	v_pk_add_f16 v42, v42, v71
	v_pk_add_f16 v71, v39, v73 op_sel_hi:[0,1]
	v_pk_fma_f16 v73, 0x35c83b29, v8, v74 op_sel_hi:[1,0,1]
	v_add_f16_e32 v100, v100, v27
	v_pk_mul_f16 v78, 0x3722bbdd, v54 op_sel_hi:[1,0]
	v_pk_mul_f16 v68, 0xbbddb8d2, v51 op_sel_hi:[1,0]
	v_pk_add_f16 v61, v61, v63
	v_pk_fma_f16 v63, 0xba62b5c8, v49, v77 op_sel_hi:[1,0,1] neg_lo:[0,1,0] neg_hi:[0,1,0]
	v_pk_add_f16 v71, v71, v73
	v_bfi_b32 v82, 0xffff, v82, v99
	v_bfi_b32 v67, 0xffff, v81, v67
	v_pk_fma_f16 v75, 0xb836bbf7, v43, v75 op_sel_hi:[1,0,1]
	v_pk_mul_f16 v55, 0x39e93722, v55 op_sel_hi:[1,0]
	v_add_f16_e32 v100, v100, v28
	v_pk_mul_f16 v79, 0xb46139e9, v56 op_sel_hi:[1,0]
	v_pk_mul_f16 v92, 0xb461bbdd, v47 op_sel_hi:[1,0]
	v_pk_add_f16 v61, v61, v63
	v_pk_fma_f16 v81, 0x3b29b1e1, v53, v78 op_sel_hi:[1,0,1] neg_lo:[0,1,0] neg_hi:[0,1,0]
	v_pk_add_f16 v71, v71, v75
	v_pk_fma_f16 v75, 0x39643a62, v45, v76 op_sel_hi:[1,0,1]
	v_pk_add_f16 v67, v82, v67
	v_bfi_b32 v76, 0xffff, v84, v101
	v_bfi_b32 v68, 0xffff, v83, v68
	v_pk_fma_f16 v44, 0xb964bb29, v44, v55 op_sel_hi:[1,0,1]
	v_pk_mul_f16 v51, 0x2de8b8d2, v51 op_sel_hi:[1,0]
	v_add_f16_e32 v100, v100, v29
	v_pk_mul_f16 v70, 0x3b76b461, v48 op_sel_hi:[1,0]
	v_pk_add_f16 v61, v61, v81
	v_pk_fma_f16 v81, 0xbbb23964, v46, v79 op_sel_hi:[1,0,1] neg_lo:[0,1,0] neg_hi:[0,1,0]
	v_pk_add_f16 v71, v71, v75
	v_pk_fma_f16 v75, 0xba62b5c8, v49, v77 op_sel_hi:[1,0,1]
	v_pk_add_f16 v67, v39, v67 op_sel_hi:[0,1]
	v_pk_add_f16 v68, v76, v68
	v_bfi_b32 v76, 0xffff, v87, v97
	v_bfi_b32 v77, 0xffff, v85, v92
	v_pk_add_f16 v39, v39, v44 op_sel_hi:[0,1]
	v_pk_fma_f16 v8, 0xbbf7ba62, v8, v51 op_sel_hi:[1,0,1]
	v_pk_mul_f16 v44, 0xb8d2bbdd, v47 op_sel_hi:[1,0]
	v_add_f16_e32 v100, v100, v33
	v_pk_mul_f16 v74, 0x372239e9, v52 op_sel_hi:[1,0]
	v_pk_add_f16 v81, v61, v81
	v_pk_add_f16 v61, v71, v75
	;; [unrolled: 1-line block ×4, first 2 shown]
	v_bfi_b32 v71, 0xffff, v89, v96
	v_bfi_b32 v70, 0xffff, v88, v70
	v_pk_add_f16 v8, v39, v8
	v_pk_fma_f16 v39, 0xba6231e1, v43, v44 op_sel_hi:[1,0,1]
	v_pk_mul_f16 v43, 0xbbddb461, v48 op_sel_hi:[1,0]
	v_add_f16_e32 v100, v34, v100
	v_mul_f16_e32 v72, 0x3b29, v50
	v_mul_f16_e32 v65, 0xb8d2, v57
	;; [unrolled: 1-line block ×3, first 2 shown]
	v_pk_mul_f16 v63, 0xbacd3b76, v54 op_sel_hi:[1,0]
	v_pk_add_f16 v67, v67, v68
	v_pk_add_f16 v68, v71, v70
	v_bfi_b32 v47, 0xffff, v93, v64
	v_bfi_b32 v51, 0xffff, v90, v74
	v_pk_add_f16 v8, v8, v39
	v_pk_fma_f16 v39, 0xb1e13bb2, v45, v43 op_sel_hi:[1,0,1]
	v_pk_mul_f16 v43, 0xbacd39e9, v52 op_sel_hi:[1,0]
	v_add_f16_e32 v100, v35, v100
	v_pk_mul_f16 v73, 0xb8d22de8, v56 op_sel_hi:[1,0]
	v_perm_b32 v58, v58, v65, 0x5040100
	v_perm_b32 v72, v72, v103, 0x5040100
	v_pk_add_f16 v64, v67, v68
	v_pk_add_f16 v44, v47, v51
	v_bfi_b32 v47, 0xffff, v95, v66
	v_bfi_b32 v48, 0xffff, v94, v63
	v_pk_add_f16 v8, v8, v39
	v_pk_fma_f16 v39, 0x38363964, v49, v43 op_sel_hi:[1,0,1]
	v_pk_mul_f16 v43, 0xb4613b76, v54 op_sel_hi:[1,0]
	v_pk_fma_f16 v102, 0x3b76bbdd, v57, v102 op_sel_hi:[1,0,1] neg_lo:[0,0,1] neg_hi:[0,0,1]
	v_add_f16_e32 v100, v36, v100
	v_pk_add_f16 v58, v58, v72 neg_lo:[0,1] neg_hi:[0,1]
	v_pk_mul_f16 v72, 0x39e9bacd, v57 op_sel_hi:[1,0]
	v_pk_fma_f16 v55, 0x3b29b1e1, v53, v78 op_sel_hi:[1,0,1]
	v_pk_add_f16 v44, v64, v44
	v_pk_add_f16 v47, v47, v48
	v_bfi_b32 v48, 0xffff, v104, v62
	v_bfi_b32 v49, 0xffff, v98, v73
	v_pk_add_f16 v8, v8, v39
	v_pk_fma_f16 v39, 0x3bb2b5c8, v53, v43 op_sel_hi:[1,0,1]
	v_pk_mul_f16 v43, 0x37222de8, v56 op_sel_hi:[1,0]
	v_pk_add_f16 v59, v86, v102
	v_add_f16_e32 v86, v37, v100
	v_pk_mul_f16 v80, 0x2de8b461, v57 op_sel_hi:[1,0]
	v_pk_add_f16 v45, v61, v55
	v_pk_add_f16 v44, v44, v47
	;; [unrolled: 1-line block ×3, first 2 shown]
	v_bfi_b32 v48, 0xffff, v103, v69
	v_bfi_b32 v49, 0xffff, v65, v72
	v_pk_add_f16 v8, v8, v39
	v_pk_fma_f16 v39, 0x3b29bbf7, v46, v43 op_sel_hi:[1,0,1]
	v_pk_mul_f16 v43, 0x3b76bacd, v57 op_sel_hi:[1,0]
	v_pk_fma_f16 v46, 0xbbb23964, v46, v79 op_sel_hi:[1,0,1]
	v_add_f16_e32 v86, v38, v86
	v_pk_add_f16 v44, v44, v47
	v_pk_add_f16 v47, v48, v49
	;; [unrolled: 1-line block ×3, first 2 shown]
	v_pk_fma_f16 v39, 0x35c8b836, v50, v43 op_sel_hi:[1,0,1]
	v_pk_add_f16 v43, v45, v46
	v_pk_fma_f16 v45, 0x3bf7bbb2, v50, v80 op_sel_hi:[1,0,1]
	v_add_f16_e32 v86, v40, v86
	v_mul_u32_u24_e32 v99, 34, v3
	v_pk_fma_f16 v46, 0x3bf7bbb2, v50, v80 op_sel_hi:[1,0,1] neg_lo:[0,1,0] neg_hi:[0,1,0]
	v_pk_add_f16 v44, v44, v47
	v_pk_add_f16 v8, v8, v39
	;; [unrolled: 1-line block ×3, first 2 shown]
	v_add_f16_e32 v86, v41, v86
	v_add3_u32 v99, 0, v99, v0
	v_pk_add_f16 v61, v42, v58
	v_pk_add_f16 v62, v81, v46
	v_perm_b32 v43, v44, v7, 0x5040100
	v_alignbit_b32 v44, v8, v44, 16
	v_alignbit_b32 v45, v91, v8, 16
	;; [unrolled: 1-line block ×3, first 2 shown]
	ds_store_b16 v99, v86
	ds_store_b128 v99, v[59:62] offset:2
	ds_store_b128 v99, v[42:45] offset:18
.LBB0_13:
	s_wait_alu 0xfffe
	s_or_b32 exec_lo, exec_lo, s1
	v_sub_f16_e32 v52, v31, v41
	v_add_f16_e32 v47, v26, v10
	v_sub_f16_e32 v51, v32, v40
	v_add_f16_e32 v48, v25, v11
	v_sub_f16_e32 v56, v4, v38
	v_pk_mul_f16 v45, 0xba62bbb2, v52 op_sel_hi:[1,0]
	v_add_f16_e32 v49, v24, v12
	v_pk_mul_f16 v44, 0x3bb23836, v51 op_sel_hi:[1,0]
	v_sub_f16_e32 v55, v30, v37
	v_pk_mul_f16 v46, 0xb5c83964, v56 op_sel_hi:[1,0]
	v_pk_fma_f16 v4, 0xb8d2b461, v47, v45 op_sel_hi:[1,0,1] neg_lo:[0,0,1] neg_hi:[0,0,1]
	v_add_f16_e32 v50, v23, v13
	v_pk_fma_f16 v8, 0xb461bacd, v48, v44 op_sel_hi:[1,0,1] neg_lo:[0,0,1] neg_hi:[0,0,1]
	v_sub_f16_e32 v58, v9, v36
	v_pk_mul_f16 v43, 0xb836bb29, v55 op_sel_hi:[1,0]
	v_pk_add_f16 v4, v21, v4 op_sel_hi:[0,1]
	v_pk_fma_f16 v9, 0x3b7639e9, v49, v46 op_sel_hi:[1,0,1] neg_lo:[0,0,1] neg_hi:[0,0,1]
	v_add_f16_e32 v53, v22, v14
	v_pk_mul_f16 v39, 0x3bf7b1e1, v58 op_sel_hi:[1,0]
	v_sub_f16_e32 v59, v27, v35
	v_pk_add_f16 v4, v4, v8
	v_pk_fma_f16 v8, 0xbacd3722, v50, v43 op_sel_hi:[1,0,1] neg_lo:[0,0,1] neg_hi:[0,0,1]
	v_sub_f16_e32 v60, v28, v34
	v_pk_fma_f16 v27, 0x2de8bbdd, v53, v39 op_sel_hi:[1,0,1] neg_lo:[0,0,1] neg_hi:[0,0,1]
	v_sub_f16_e32 v61, v29, v33
	v_pk_add_f16 v4, v4, v9
	v_lshlrev_b32_e32 v9, 1, v3
	global_wb scope:SCOPE_SE
	s_wait_dscnt 0x0
	s_barrier_signal -1
	s_barrier_wait -1
	v_pk_add_f16 v4, v4, v8
	v_add_nc_u32_e32 v38, 0, v9
	v_add3_u32 v8, 0, v0, v9
	global_inv scope:SCOPE_SE
	v_add_f16_e32 v54, v20, v15
	v_pk_add_f16 v63, v4, v27
	v_add_nc_u32_e32 v4, v38, v0
	v_pk_mul_f16 v41, 0xb9643bf7, v59 op_sel_hi:[1,0]
	v_add_f16_e32 v57, v19, v16
	ds_load_u16 v27, v8
	ds_load_u16 v37, v4 offset:204
	ds_load_u16 v36, v4 offset:408
	;; [unrolled: 1-line block ×10, first 2 shown]
	v_pk_mul_f16 v40, 0xb1e1b5c8, v60 op_sel_hi:[1,0]
	v_pk_fma_f16 v42, 0x39e92de8, v54, v41 op_sel_hi:[1,0,1] neg_lo:[0,0,1] neg_hi:[0,0,1]
	v_add_f16_e32 v62, v17, v18
	s_add_nc_u64 s[2:3], s[14:15], s[2:3]
	global_wb scope:SCOPE_SE
	s_wait_dscnt 0x0
	s_barrier_signal -1
	v_pk_add_f16 v9, v63, v42
	v_pk_fma_f16 v63, 0xbbdd3b76, v57, v40 op_sel_hi:[1,0,1] neg_lo:[0,0,1] neg_hi:[0,0,1]
	v_pk_mul_f16 v42, 0x3b29ba62, v61 op_sel_hi:[1,0]
	s_barrier_wait -1
	global_inv scope:SCOPE_SE
	v_pk_add_f16 v9, v9, v63
	v_pk_fma_f16 v63, 0x3722b8d2, v62, v42 op_sel_hi:[1,0,1] neg_lo:[0,0,1] neg_hi:[0,0,1]
	s_delay_alu instid0(VALU_DEP_1)
	v_pk_add_f16 v9, v9, v63
	s_and_saveexec_b32 s1, s0
	s_cbranch_execz .LBB0_15
; %bb.14:
	v_add_f16_e32 v26, v21, v26
	v_pack_b32_f16 v52, v52, v52
	v_pack_b32_f16 v63, v47, v47
	v_perm_b32 v21, v21, v21, 0x5040100
	v_pack_b32_f16 v64, v48, v48
	v_add_f16_e32 v25, v26, v25
	v_pack_b32_f16 v26, v51, v51
	v_pack_b32_f16 v56, v56, v56
	v_pack_b32_f16 v51, v49, v49
	v_pack_b32_f16 v65, v50, v50
	v_add_f16_e32 v24, v25, v24
	v_pack_b32_f16 v25, v55, v55
	v_pack_b32_f16 v55, v53, v53
	v_pack_b32_f16 v66, v54, v54
	;; [unrolled: 5-line block ×3, first 2 shown]
	v_pk_mul_f16 v68, 0xb1e1bbf7, v25
	v_add_f16_e32 v22, v23, v22
	v_pack_b32_f16 v23, v61, v61
	v_pk_mul_f16 v61, 0xbbf7b964, v26
	v_pk_mul_f16 v69, 0x3836bbb2, v58
	v_pk_fma_f16 v73, 0xbbdd2de8, v65, v68
	v_add_f16_e32 v20, v22, v20
	v_pk_mul_f16 v22, 0xbacd3722, v50 op_sel_hi:[1,0]
	v_pk_mul_f16 v50, 0x2de8bbdd, v53 op_sel_hi:[1,0]
	;; [unrolled: 1-line block ×4, first 2 shown]
	v_add_f16_e32 v19, v20, v19
	v_pk_mul_f16 v20, 0xb964b5c8, v52
	v_pk_mul_f16 v57, 0x3722b8d2, v62 op_sel_hi:[1,0]
	v_pk_mul_f16 v62, 0xba62bb29, v56
	v_pk_fma_f16 v70, 0x2de839e9, v64, v61
	v_add_f16_e32 v17, v19, v17
	v_pk_fma_f16 v19, 0x39e93b76, v63, v20
	v_pack_b32_f16 v60, v60, v60
	v_pk_fma_f16 v72, 0xb8d23722, v51, v62
	v_pk_fma_f16 v20, 0x39e93b76, v63, v20 neg_lo:[0,0,1] neg_hi:[0,0,1]
	v_add_f16_e32 v17, v17, v18
	v_pk_add_f16 v18, v21, v19
	v_pk_mul_f16 v19, 0x3bb2ba62, v24
	v_pk_mul_f16 v71, 0x3b29b836, v60
	v_pk_fma_f16 v61, 0x2de839e9, v64, v61 neg_lo:[0,0,1] neg_hi:[0,0,1]
	v_add_f16_e32 v16, v16, v17
	v_pk_add_f16 v17, v18, v70
	v_pk_add_f16 v20, v21, v20
	v_pk_mul_f16 v18, 0x35c8b1e1, v23
	v_pk_mul_f16 v70, 0xbbf7bb29, v52
	v_add_f16_e32 v15, v15, v16
	v_pk_add_f16 v16, v17, v72
	v_pk_fma_f16 v72, 0xbacdb461, v55, v69
	v_pk_fma_f16 v62, 0xb8d23722, v51, v62 neg_lo:[0,0,1] neg_hi:[0,0,1]
	v_pk_add_f16 v20, v20, v61
	v_add_f16_e32 v14, v14, v15
	v_pk_add_f16 v15, v16, v73
	v_pk_fma_f16 v16, 0xb461b8d2, v66, v19
	v_pk_mul_f16 v17, 0xb1e1ba62, v26
	v_pk_add_f16 v20, v20, v62
	v_add_f16_e32 v13, v13, v14
	v_pk_add_f16 v14, v15, v72
	v_pk_fma_f16 v15, 0x3722bacd, v59, v71
	v_pk_mul_f16 v47, 0xb8d2b461, v47 op_sel_hi:[1,0]
	v_pk_mul_f16 v48, 0xb461bacd, v48 op_sel_hi:[1,0]
	v_add_f16_e32 v12, v12, v13
	v_pk_add_f16 v13, v14, v16
	v_pk_fma_f16 v14, 0x3b76bbdd, v67, v18
	v_pk_fma_f16 v16, 0xbbdd2de8, v65, v68 neg_lo:[0,0,1] neg_hi:[0,0,1]
	v_pk_fma_f16 v61, 0x3722bacd, v59, v71 neg_lo:[0,0,1] neg_hi:[0,0,1]
	v_add_f16_e32 v11, v11, v12
	v_pk_add_f16 v12, v13, v15
	v_pk_fma_f16 v13, 0x2de83722, v63, v70
	v_pk_fma_f16 v15, 0xbacdb461, v55, v69 neg_lo:[0,0,1] neg_hi:[0,0,1]
	v_pk_add_f16 v16, v20, v16
	v_add_f16_e32 v20, v10, v11
	v_pk_add_f16 v10, v12, v14
	v_pk_add_f16 v11, v21, v13
	v_pk_fma_f16 v12, 0xbbddb8d2, v64, v17
	v_pk_mul_f16 v13, 0x3bb231e1, v56
	v_pk_add_f16 v14, v16, v15
	v_pk_fma_f16 v15, 0xb461b8d2, v66, v19 neg_lo:[0,0,1] neg_hi:[0,0,1]
	v_pk_fma_f16 v16, 0x2de83722, v63, v70 neg_lo:[0,0,1] neg_hi:[0,0,1]
	v_pk_add_f16 v11, v11, v12
	v_pk_fma_f16 v12, 0xb461bbdd, v51, v13
	v_pk_mul_f16 v19, 0x35c83bb2, v25
	v_pk_add_f16 v14, v14, v15
	v_pk_add_f16 v15, v21, v16
	v_pk_fma_f16 v16, 0xbbddb8d2, v64, v17 neg_lo:[0,0,1] neg_hi:[0,0,1]
	v_pk_add_f16 v11, v11, v12
	v_pk_fma_f16 v12, 0x3b76b461, v65, v19
	v_pk_mul_f16 v17, 0xbb293964, v58
	v_pk_fma_f16 v13, 0xb461bbdd, v51, v13 neg_lo:[0,0,1] neg_hi:[0,0,1]
	v_pk_add_f16 v15, v15, v16
	v_pk_mul_f16 v16, 0xb836b5c8, v24
	v_pk_add_f16 v11, v11, v12
	v_pk_fma_f16 v12, 0x372239e9, v55, v17
	v_pk_mul_f16 v49, 0x3b7639e9, v49 op_sel_hi:[1,0]
	v_pk_add_f16 v13, v15, v13
	v_pk_fma_f16 v15, 0x3b76b461, v65, v19 neg_lo:[0,0,1] neg_hi:[0,0,1]
	v_pk_mul_f16 v19, 0x3a62bbf7, v60
	v_pk_add_f16 v11, v11, v12
	v_pk_fma_f16 v12, 0xbacd3b76, v66, v16
	v_pk_add_f16 v14, v14, v61
	v_pk_add_f16 v13, v13, v15
	v_pk_fma_f16 v15, 0x372239e9, v55, v17 neg_lo:[0,0,1] neg_hi:[0,0,1]
	v_pk_fma_f16 v18, 0x3b76bbdd, v67, v18 neg_lo:[0,0,1] neg_hi:[0,0,1]
	v_pk_add_f16 v11, v11, v12
	v_pk_add_f16 v12, v47, v45
	v_pk_fma_f16 v17, 0xb8d22de8, v59, v19
	v_pk_mul_f16 v45, 0x3964b836, v23
	v_pk_add_f16 v13, v13, v15
	v_pk_fma_f16 v15, 0xbacd3b76, v66, v16 neg_lo:[0,0,1] neg_hi:[0,0,1]
	v_pk_add_f16 v12, v21, v12
	v_pk_add_f16 v16, v48, v44
	;; [unrolled: 1-line block ×3, first 2 shown]
	v_pk_fma_f16 v17, 0x39e9bacd, v67, v45
	v_pk_add_f16 v13, v13, v15
	v_pk_fma_f16 v15, 0xb8d22de8, v59, v19 neg_lo:[0,0,1] neg_hi:[0,0,1]
	v_pk_add_f16 v12, v12, v16
	v_pk_add_f16 v16, v49, v46
	;; [unrolled: 1-line block ×3, first 2 shown]
	v_pk_mul_f16 v14, 0xb1e1b836, v52
	v_pk_add_f16 v11, v11, v17
	v_pk_add_f16 v13, v13, v15
	;; [unrolled: 1-line block ×4, first 2 shown]
	v_pk_fma_f16 v16, 0xbbddbacd, v63, v14 neg_lo:[0,0,1] neg_hi:[0,0,1]
	v_pk_mul_f16 v17, 0x35c83b29, v26
	v_pk_fma_f16 v14, 0xbbddbacd, v63, v14
	v_pk_mul_f16 v22, 0xb836bbf7, v56
	v_pk_add_f16 v12, v12, v15
	v_pk_add_f16 v15, v21, v16
	v_pk_fma_f16 v16, 0x3b763722, v64, v17 neg_lo:[0,0,1] neg_hi:[0,0,1]
	v_pk_add_f16 v14, v21, v14
	v_pk_fma_f16 v17, 0x3b763722, v64, v17
	v_pk_add_f16 v21, v50, v39
	v_pk_mul_f16 v25, 0x39643a62, v25
	v_pk_add_f16 v15, v15, v16
	v_pk_fma_f16 v16, 0xbacd2de8, v51, v22 neg_lo:[0,0,1] neg_hi:[0,0,1]
	v_pk_add_f16 v14, v14, v17
	v_pk_fma_f16 v17, 0xbacd2de8, v51, v22
	v_pk_add_f16 v12, v12, v21
	v_pk_mul_f16 v21, 0xba62b5c8, v58
	v_pk_add_f16 v15, v15, v16
	v_pk_fma_f16 v16, 0x39e9b8d2, v65, v25 neg_lo:[0,0,1] neg_hi:[0,0,1]
	v_pk_add_f16 v14, v14, v17
	v_pk_fma_f16 v17, 0x39e9b8d2, v65, v25
	v_pk_mul_f16 v24, 0x3b29b1e1, v24
	v_pk_add_f16 v22, v53, v41
	v_pk_add_f16 v15, v15, v16
	v_pk_fma_f16 v16, 0xb8d23b76, v55, v21 neg_lo:[0,0,1] neg_hi:[0,0,1]
	v_pk_add_f16 v14, v14, v17
	v_pk_fma_f16 v17, 0xb8d23b76, v55, v21
	v_pk_mul_f16 v21, 0xbbb23964, v60
	v_pk_mul_f16 v23, 0x3bf7bbb2, v23
	v_pk_add_f16 v15, v15, v16
	v_pk_fma_f16 v16, 0x3722bbdd, v66, v24 neg_lo:[0,0,1] neg_hi:[0,0,1]
	v_pk_add_f16 v14, v14, v17
	v_pk_fma_f16 v17, 0x3722bbdd, v66, v24
	v_pk_add_f16 v12, v12, v22
	v_pk_add_f16 v22, v54, v40
	;; [unrolled: 1-line block ×3, first 2 shown]
	v_pk_fma_f16 v16, 0xb46139e9, v59, v21 neg_lo:[0,0,1] neg_hi:[0,0,1]
	v_pk_add_f16 v14, v14, v17
	v_pk_fma_f16 v17, 0xb46139e9, v59, v21
	v_pk_fma_f16 v19, 0x39e9bacd, v67, v45 neg_lo:[0,0,1] neg_hi:[0,0,1]
	v_pk_add_f16 v12, v12, v22
	v_pk_add_f16 v15, v15, v16
	v_pk_fma_f16 v16, 0x2de8b461, v67, v23 neg_lo:[0,0,1] neg_hi:[0,0,1]
	v_lshlrev_b32_e32 v22, 5, v3
	v_pk_add_f16 v21, v57, v42
	v_pk_add_f16 v14, v14, v17
	v_pk_fma_f16 v17, 0x2de8b461, v67, v23
	v_pk_add_f16 v15, v15, v16
	v_pk_add_f16 v16, v13, v19
	v_add3_u32 v19, v38, v22, v0
	v_pk_add_f16 v12, v12, v21
	v_pk_add_f16 v13, v14, v17
	v_alignbit_b32 v14, v15, v15, 16
	v_alignbit_b32 v15, v9, v9, 16
	;; [unrolled: 1-line block ×4, first 2 shown]
	ds_store_b16 v19, v20
	ds_store_b128 v19, v[10:13] offset:2
	ds_store_b128 v19, v[14:17] offset:18
.LBB0_15:
	s_wait_alu 0xfffe
	s_or_b32 exec_lo, exec_lo, s1
	v_and_b32_e32 v10, 0xff, v3
	s_load_b64 s[2:3], s[2:3], 0x0
	global_wb scope:SCOPE_SE
	s_wait_dscnt 0x0
	s_wait_kmcnt 0x0
	s_barrier_signal -1
	s_barrier_wait -1
	v_mul_lo_u16 v10, 0xf1, v10
	global_inv scope:SCOPE_SE
	v_cmp_gt_u32_e64 s0, 0x55, v3
	v_lshrrev_b16 v14, 12, v10
	s_delay_alu instid0(VALU_DEP_1) | instskip(SKIP_1) | instid1(VALU_DEP_2)
	v_mul_lo_u16 v10, v14, 17
	v_and_b32_e32 v14, 0xffff, v14
	v_sub_nc_u16 v10, v3, v10
	s_delay_alu instid0(VALU_DEP_1) | instskip(NEXT) | instid1(VALU_DEP_1)
	v_and_b32_e32 v19, 0xff, v10
	v_mul_u32_u24_e32 v10, 10, v19
	v_lshlrev_b32_e32 v19, 1, v19
	s_delay_alu instid0(VALU_DEP_2)
	v_lshlrev_b32_e32 v20, 2, v10
	s_clause 0x2
	global_load_b128 v[10:13], v20, s[4:5]
	global_load_b128 v[15:18], v20, s[4:5] offset:16
	global_load_b64 v[41:42], v20, s[4:5] offset:32
	v_mad_u32_u24 v20, 0x176, v14, 0
	ds_load_u16 v14, v8
	ds_load_u16 v43, v4 offset:204
	ds_load_u16 v44, v4 offset:408
	;; [unrolled: 1-line block ×10, first 2 shown]
	global_wb scope:SCOPE_SE
	s_wait_loadcnt_dscnt 0x0
	s_barrier_signal -1
	s_barrier_wait -1
	v_add3_u32 v0, v20, v19, v0
	global_inv scope:SCOPE_SE
	v_lshrrev_b32_e32 v19, 16, v10
	v_lshrrev_b32_e32 v20, 16, v11
	;; [unrolled: 1-line block ×5, first 2 shown]
	v_mul_f16_e32 v57, v43, v19
	v_lshrrev_b32_e32 v23, 16, v15
	v_lshrrev_b32_e32 v24, 16, v16
	;; [unrolled: 1-line block ×5, first 2 shown]
	v_mul_f16_e32 v40, v37, v19
	v_mul_f16_e32 v19, v44, v20
	;; [unrolled: 1-line block ×4, first 2 shown]
	v_fma_f16 v37, v37, v10, -v57
	v_mul_f16_e32 v58, v45, v21
	v_mul_f16_e32 v38, v35, v21
	;; [unrolled: 1-line block ×15, first 2 shown]
	v_fmac_f16_e32 v40, v43, v10
	v_fma_f16 v36, v36, v11, -v19
	v_fmac_f16_e32 v20, v52, v42
	v_add_f16_e32 v10, v27, v37
	v_fmac_f16_e32 v39, v44, v11
	v_fma_f16 v35, v35, v12, -v58
	v_fmac_f16_e32 v38, v45, v12
	v_fmac_f16_e32 v26, v46, v13
	v_fmac_f16_e32 v25, v47, v15
	v_fmac_f16_e32 v24, v48, v16
	v_fmac_f16_e32 v23, v49, v17
	v_fmac_f16_e32 v22, v50, v18
	v_fma_f16 v30, v30, v42, -v55
	v_fmac_f16_e32 v21, v51, v41
	v_sub_f16_e32 v12, v40, v20
	v_add_f16_e32 v10, v10, v36
	v_fma_f16 v34, v34, v13, -v59
	v_fma_f16 v33, v33, v15, -v60
	;; [unrolled: 1-line block ×6, first 2 shown]
	v_add_f16_e32 v11, v37, v30
	v_sub_f16_e32 v15, v39, v21
	v_sub_f16_e32 v17, v38, v22
	;; [unrolled: 1-line block ×4, first 2 shown]
	v_mul_f16_e32 v43, 0xbb47, v12
	v_pk_mul_f16 v48, 0xb853bbeb, v12 op_sel_hi:[1,0]
	v_add_f16_e32 v10, v10, v35
	v_pk_mul_f16 v12, 0xba0cb482, v12 op_sel_hi:[1,0]
	v_add_f16_e32 v13, v36, v28
	v_add_f16_e32 v16, v35, v29
	;; [unrolled: 1-line block ×4, first 2 shown]
	v_mul_f16_e32 v44, 0xba0c, v15
	v_mul_f16_e32 v45, 0x3482, v17
	;; [unrolled: 1-line block ×4, first 2 shown]
	v_pk_mul_f16 v49, 0xbb473482, v15 op_sel_hi:[1,0]
	v_pk_mul_f16 v50, 0xbbeb3b47, v17 op_sel_hi:[1,0]
	;; [unrolled: 1-line block ×8, first 2 shown]
	v_fma_f16 v53, v11, 0x36a6, -v43
	v_fmac_f16_e32 v43, 0x36a6, v11
	v_pk_fma_f16 v58, 0x3abbb08e, v11, v48 op_sel_hi:[1,0,1] neg_lo:[0,0,1] neg_hi:[0,0,1]
	v_add_f16_e32 v10, v10, v34
	v_pk_fma_f16 v63, 0xb93dbbad, v11, v12 op_sel_hi:[1,0,1] neg_lo:[0,0,1] neg_hi:[0,0,1]
	v_pk_fma_f16 v48, 0x3abbb08e, v11, v48 op_sel_hi:[1,0,1]
	v_fma_f16 v54, v13, 0xb93d, -v44
	v_fmac_f16_e32 v44, 0xb93d, v13
	v_fma_f16 v55, v16, 0xbbad, -v45
	v_fmac_f16_e32 v45, 0xbbad, v16
	;; [unrolled: 2-line block ×4, first 2 shown]
	v_pk_fma_f16 v59, 0x36a6bbad, v13, v49 op_sel_hi:[1,0,1] neg_lo:[0,0,1] neg_hi:[0,0,1]
	v_pk_fma_f16 v49, 0x36a6bbad, v13, v49 op_sel_hi:[1,0,1]
	v_pk_fma_f16 v60, 0xb08e36a6, v16, v50 op_sel_hi:[1,0,1] neg_lo:[0,0,1] neg_hi:[0,0,1]
	v_pk_fma_f16 v50, 0xb08e36a6, v16, v50 op_sel_hi:[1,0,1]
	;; [unrolled: 2-line block ×4, first 2 shown]
	v_pk_fma_f16 v11, 0xb93dbbad, v11, v12 op_sel_hi:[1,0,1]
	v_pk_fma_f16 v12, 0xb08e3abb, v13, v15 op_sel_hi:[1,0,1] neg_lo:[0,0,1] neg_hi:[0,0,1]
	v_pk_fma_f16 v13, 0xb08e3abb, v13, v15 op_sel_hi:[1,0,1]
	v_pk_fma_f16 v15, 0x3abbb93d, v16, v17 op_sel_hi:[1,0,1] neg_lo:[0,0,1] neg_hi:[0,0,1]
	;; [unrolled: 2-line block ×4, first 2 shown]
	v_pk_fma_f16 v41, 0x36a6b08e, v41, v42 op_sel_hi:[1,0,1]
	v_add_f16_e32 v42, v27, v53
	v_add_f16_e32 v43, v27, v43
	v_lshrrev_b32_e32 v53, 16, v58
	v_add_f16_e32 v58, v27, v58
	v_add_f16_e32 v10, v10, v33
	v_lshrrev_b32_e32 v68, 16, v63
	v_pk_add_f16 v48, v27, v48 op_sel_hi:[0,1]
	v_lshrrev_b32_e32 v64, 16, v59
	v_add_f16_e32 v63, v27, v63
	v_pk_add_f16 v11, v27, v11 op_sel_hi:[0,1]
	v_add_f16_e32 v42, v54, v42
	v_add_f16_e32 v43, v44, v43
	;; [unrolled: 1-line block ×5, first 2 shown]
	v_lshrrev_b32_e32 v69, 16, v12
	v_add_f16_e32 v27, v27, v68
	v_pk_add_f16 v48, v49, v48
	v_lshrrev_b32_e32 v65, 16, v60
	v_add_f16_e32 v12, v12, v63
	v_pk_add_f16 v11, v13, v11
	v_add_f16_e32 v13, v55, v42
	v_add_f16_e32 v42, v45, v43
	;; [unrolled: 1-line block ×5, first 2 shown]
	v_lshrrev_b32_e32 v70, 16, v15
	v_add_f16_e32 v27, v69, v27
	v_pk_add_f16 v45, v50, v48
	v_lshrrev_b32_e32 v66, 16, v61
	v_add_f16_e32 v12, v15, v12
	v_pk_add_f16 v11, v16, v11
	v_add_f16_e32 v15, v46, v42
	v_add_f16_e32 v16, v65, v43
	v_add_f16_e32 v42, v61, v44
	v_add_f16_e32 v10, v10, v29
	v_lshrrev_b32_e32 v71, 16, v17
	v_add_f16_e32 v27, v70, v27
	v_pk_add_f16 v43, v51, v45
	v_add_f16_e32 v17, v17, v12
	v_pk_add_f16 v18, v18, v11
	v_add_f16_e32 v12, v47, v15
	v_add_f16_e32 v15, v66, v16
	;; [unrolled: 1-line block ×4, first 2 shown]
	v_lshrrev_b32_e32 v67, 16, v62
	v_lshrrev_b32_e32 v72, 16, v19
	v_add_f16_e32 v13, v56, v13
	v_add_f16_e32 v27, v71, v27
	v_pk_add_f16 v11, v52, v43
	v_pk_add_f16 v10, v41, v18
	v_add_f16_e32 v18, v42, v30
	v_add_f16_e32 v13, v57, v13
	;; [unrolled: 1-line block ×5, first 2 shown]
	ds_store_b16 v0, v11 offset:272
	ds_store_b16 v0, v12 offset:306
	ds_store_b16_d16_hi v0, v11 offset:340
	ds_store_b16 v0, v18
	ds_store_b16 v0, v15 offset:34
	ds_store_b16 v0, v13 offset:68
	ds_store_b16 v0, v16 offset:102
	ds_store_b16 v0, v19 offset:136
	ds_store_b16 v0, v17 offset:170
	ds_store_b16 v0, v10 offset:204
	ds_store_b16_d16_hi v0, v10 offset:238
	global_wb scope:SCOPE_SE
	s_wait_dscnt 0x0
	s_barrier_signal -1
	s_barrier_wait -1
	global_inv scope:SCOPE_SE
	ds_load_u16 v13, v8
	ds_load_u16 v15, v4 offset:374
	ds_load_u16 v18, v4 offset:748
	;; [unrolled: 1-line block ×5, first 2 shown]
	s_and_saveexec_b32 s1, s0
	s_cbranch_execz .LBB0_17
; %bb.16:
	ds_load_u16 v10, v4 offset:204
	ds_load_u16 v11, v4 offset:952
	;; [unrolled: 1-line block ×3, first 2 shown]
	s_wait_dscnt 0x2
	ds_load_u16_d16_hi v10, v4 offset:578
	ds_load_u16 v12, v4 offset:1326
	s_wait_dscnt 0x3
	ds_load_u16_d16_hi v11, v4 offset:1700
.LBB0_17:
	s_wait_alu 0xfffe
	s_or_b32 exec_lo, exec_lo, s1
	v_add_f16_e32 v27, v14, v40
	v_sub_f16_e32 v29, v35, v29
	v_add_f16_e32 v35, v26, v23
	v_sub_f16_e32 v30, v37, v30
	v_sub_f16_e32 v31, v34, v31
	v_add_f16_e32 v27, v27, v39
	v_add_f16_e32 v34, v25, v24
	;; [unrolled: 1-line block ×3, first 2 shown]
	v_sub_f16_e32 v28, v36, v28
	v_sub_f16_e32 v32, v33, v32
	v_add_f16_e32 v27, v27, v38
	v_mul_f16_e32 v33, 0xba0c, v30
	v_add_f16_e32 v37, v39, v21
	v_add_f16_e32 v36, v38, v22
	v_mul_f16_e32 v38, 0x3beb, v28
	v_add_f16_e32 v26, v27, v26
	v_fmamk_f16 v43, v40, 0xb93d, v33
	v_fma_f16 v33, v40, 0xb93d, -v33
	v_mul_f16_e32 v27, 0xb853, v29
	v_pk_mul_f16 v41, 0xbbebbb47, v30 op_sel_hi:[1,0]
	v_add_f16_e32 v25, v26, v25
	v_fmamk_f16 v44, v37, 0xb08e, v38
	v_add_f16_e32 v43, v14, v43
	v_add_f16_e32 v33, v14, v33
	v_mul_f16_e32 v39, 0xb482, v31
	v_add_f16_e32 v24, v25, v24
	v_fma_f16 v25, v37, 0xb08e, -v38
	v_pk_mul_f16 v42, 0x3482ba0c, v28 op_sel_hi:[1,0]
	v_fmamk_f16 v38, v36, 0x3abb, v27
	v_fma_f16 v27, v36, 0x3abb, -v27
	v_add_f16_e32 v23, v24, v23
	v_add_f16_e32 v43, v44, v43
	;; [unrolled: 1-line block ×3, first 2 shown]
	v_pk_mul_f16 v26, 0x3b473482, v29 op_sel_hi:[1,0]
	v_fmamk_f16 v24, v35, 0xbbad, v39
	v_add_f16_e32 v22, v23, v22
	v_pk_fma_f16 v23, 0xb08e36a6, v40, v41 op_sel_hi:[1,0,1]
	v_pk_fma_f16 v41, 0xb08e36a6, v40, v41 op_sel_hi:[1,0,1] neg_lo:[0,0,1] neg_hi:[0,0,1]
	v_add_f16_e32 v33, v38, v43
	v_add_f16_e32 v25, v27, v25
	;; [unrolled: 1-line block ×3, first 2 shown]
	v_pk_fma_f16 v22, 0xbbadb93d, v37, v42 op_sel_hi:[1,0,1]
	v_lshrrev_b32_e32 v38, 16, v23
	v_add_f16_e32 v24, v24, v33
	v_fma_f16 v39, v35, 0xbbad, -v39
	v_add_f16_e32 v27, v21, v20
	v_add_f16_e32 v20, v14, v23
	;; [unrolled: 1-line block ×3, first 2 shown]
	v_pk_add_f16 v23, v14, v41 op_sel_hi:[0,1]
	v_lshrrev_b32_e32 v33, 16, v22
	v_pk_fma_f16 v38, 0x36a6bbad, v36, v26 op_sel_hi:[1,0,1]
	v_pk_fma_f16 v41, 0xbbadb93d, v37, v42 op_sel_hi:[1,0,1] neg_lo:[0,0,1] neg_hi:[0,0,1]
	v_add_f16_e32 v20, v22, v20
	v_pk_mul_f16 v22, 0xb8533beb, v31 op_sel_hi:[1,0]
	v_add_f16_e32 v21, v33, v21
	v_lshrrev_b32_e32 v33, 16, v38
	v_pk_add_f16 v23, v41, v23
	v_pk_fma_f16 v26, 0x36a6bbad, v36, v26 op_sel_hi:[1,0,1] neg_lo:[0,0,1] neg_hi:[0,0,1]
	v_pk_fma_f16 v41, 0x3abbb08e, v35, v22 op_sel_hi:[1,0,1]
	v_add_f16_e32 v20, v38, v20
	v_add_f16_e32 v21, v33, v21
	v_pk_mul_f16 v33, 0xba0c3853, v32 op_sel_hi:[1,0]
	v_pk_add_f16 v23, v26, v23
	v_lshrrev_b32_e32 v26, 16, v41
	v_add_f16_e32 v20, v41, v20
	v_pk_fma_f16 v22, 0x3abbb08e, v35, v22 op_sel_hi:[1,0,1] neg_lo:[0,0,1] neg_hi:[0,0,1]
	v_pk_fma_f16 v38, 0xb93d3abb, v34, v33 op_sel_hi:[1,0,1]
	v_pk_mul_f16 v28, 0xbb473853, v28 op_sel_hi:[1,0]
	v_add_f16_e32 v21, v26, v21
	v_pk_mul_f16 v26, 0xb853b482, v30 op_sel_hi:[1,0]
	v_pk_add_f16 v22, v22, v23
	v_add_f16_e32 v30, v38, v20
	v_lshrrev_b32_e32 v20, 16, v38
	v_pk_fma_f16 v23, 0xb93d3abb, v34, v33 op_sel_hi:[1,0,1] neg_lo:[0,0,1] neg_hi:[0,0,1]
	v_pk_fma_f16 v33, 0x3abbbbad, v40, v26 op_sel_hi:[1,0,1]
	v_add_f16_e32 v25, v39, v25
	v_pk_fma_f16 v26, 0x3abbbbad, v40, v26 op_sel_hi:[1,0,1] neg_lo:[0,0,1] neg_hi:[0,0,1]
	v_add_f16_e32 v39, v20, v21
	v_pk_add_f16 v20, v23, v22
	v_lshrrev_b32_e32 v21, 16, v33
	v_pk_fma_f16 v23, 0x36a63abb, v37, v28 op_sel_hi:[1,0,1]
	v_pk_mul_f16 v29, 0xbbebba0c, v29 op_sel_hi:[1,0]
	v_add_f16_e32 v33, v14, v33
	v_pk_fma_f16 v28, 0x36a63abb, v37, v28 op_sel_hi:[1,0,1] neg_lo:[0,0,1] neg_hi:[0,0,1]
	v_add_f16_e32 v21, v14, v21
	v_pk_add_f16 v14, v14, v26 op_sel_hi:[0,1]
	v_lshrrev_b32_e32 v40, 16, v23
	v_pk_fma_f16 v26, 0xb08eb93d, v36, v29 op_sel_hi:[1,0,1]
	v_pk_mul_f16 v31, 0xba0c3b47, v31 op_sel_hi:[1,0]
	v_pk_fma_f16 v29, 0xb08eb93d, v36, v29 op_sel_hi:[1,0,1] neg_lo:[0,0,1] neg_hi:[0,0,1]
	v_pk_add_f16 v14, v28, v14
	v_mul_f16_e32 v38, 0x3b47, v32
	v_add_f16_e32 v21, v40, v21
	v_add_f16_e32 v23, v23, v33
	v_lshrrev_b32_e32 v33, 16, v26
	v_pk_fma_f16 v28, 0xb93d36a6, v35, v31 op_sel_hi:[1,0,1]
	v_pk_mul_f16 v32, 0xb482bbeb, v32 op_sel_hi:[1,0]
	v_pk_add_f16 v14, v29, v14
	v_pk_fma_f16 v31, 0xb93d36a6, v35, v31 op_sel_hi:[1,0,1] neg_lo:[0,0,1] neg_hi:[0,0,1]
	v_add_f16_e32 v21, v33, v21
	v_add_f16_e32 v23, v26, v23
	v_lshrrev_b32_e32 v26, 16, v28
	v_pk_fma_f16 v29, 0xbbadb08e, v34, v32 op_sel_hi:[1,0,1]
	v_pk_add_f16 v14, v31, v14
	v_pk_fma_f16 v31, 0xbbadb08e, v34, v32 op_sel_hi:[1,0,1] neg_lo:[0,0,1] neg_hi:[0,0,1]
	v_fma_f16 v33, v34, 0x36a6, -v38
	v_add_f16_e32 v26, v26, v21
	v_add_f16_e32 v23, v28, v23
	v_lshrrev_b32_e32 v28, 16, v29
	v_fmamk_f16 v22, v34, 0x36a6, v38
	v_pk_add_f16 v14, v31, v14
	v_add_f16_e32 v21, v33, v25
	global_wb scope:SCOPE_SE
	s_wait_dscnt 0x0
	v_add_f16_e32 v25, v28, v26
	v_add_f16_e32 v24, v22, v24
	;; [unrolled: 1-line block ×3, first 2 shown]
	s_barrier_signal -1
	s_barrier_wait -1
	global_inv scope:SCOPE_SE
	v_lshrrev_b32_e32 v22, 16, v20
	v_lshrrev_b32_e32 v23, 16, v14
	ds_store_b16 v0, v27
	ds_store_b16 v0, v25 offset:34
	ds_store_b16 v0, v30 offset:68
	;; [unrolled: 1-line block ×10, first 2 shown]
	global_wb scope:SCOPE_SE
	s_wait_dscnt 0x0
	s_barrier_signal -1
	s_barrier_wait -1
	global_inv scope:SCOPE_SE
	ds_load_u16 v24, v8
	ds_load_u16 v25, v4 offset:374
	ds_load_u16 v28, v4 offset:748
	;; [unrolled: 1-line block ×5, first 2 shown]
	v_lshrrev_b32_e32 v8, 16, v9
	s_and_saveexec_b32 s1, s0
	s_cbranch_execz .LBB0_19
; %bb.18:
	ds_load_u16 v14, v4 offset:204
	ds_load_u16 v21, v4 offset:578
	;; [unrolled: 1-line block ×6, first 2 shown]
.LBB0_19:
	s_wait_alu 0xfffe
	s_or_b32 exec_lo, exec_lo, s1
	s_and_saveexec_b32 s1, vcc_lo
	s_cbranch_execz .LBB0_22
; %bb.20:
	v_mul_u32_u24_e32 v0, 5, v3
	v_mul_lo_u32 v6, s2, v6
	s_delay_alu instid0(VALU_DEP_2)
	v_lshlrev_b32_e32 v0, 2, v0
	s_clause 0x1
	global_load_b128 v[30:33], v0, s[4:5] offset:680
	global_load_b32 v9, v0, s[4:5] offset:696
	v_mul_lo_u32 v0, s3, v5
	v_mad_co_u64_u32 v[4:5], null, s2, v5, 0
	s_delay_alu instid0(VALU_DEP_1) | instskip(SKIP_1) | instid1(VALU_DEP_2)
	v_add3_u32 v5, v5, v6, v0
	v_lshlrev_b64_e32 v[0:1], 2, v[1:2]
	v_lshlrev_b64_e32 v[5:6], 2, v[4:5]
	v_mov_b32_e32 v4, 0
	s_delay_alu instid0(VALU_DEP_2) | instskip(SKIP_1) | instid1(VALU_DEP_3)
	v_add_co_u32 v2, vcc_lo, s10, v5
	s_wait_alu 0xfffd
	v_add_co_ci_u32_e32 v34, vcc_lo, s11, v6, vcc_lo
	s_delay_alu instid0(VALU_DEP_3) | instskip(NEXT) | instid1(VALU_DEP_3)
	v_lshlrev_b64_e32 v[5:6], 2, v[3:4]
	v_add_co_u32 v0, vcc_lo, v2, v0
	s_wait_alu 0xfffd
	s_delay_alu instid0(VALU_DEP_3) | instskip(NEXT) | instid1(VALU_DEP_2)
	v_add_co_ci_u32_e32 v1, vcc_lo, v34, v1, vcc_lo
	v_add_co_u32 v0, vcc_lo, v0, v5
	s_wait_alu 0xfffd
	s_delay_alu instid0(VALU_DEP_2)
	v_add_co_ci_u32_e32 v1, vcc_lo, v1, v6, vcc_lo
	s_wait_loadcnt 0x1
	v_lshrrev_b32_e32 v34, 16, v32
	s_wait_loadcnt 0x0
	v_lshrrev_b32_e32 v35, 16, v9
	v_lshrrev_b32_e32 v2, 16, v31
	;; [unrolled: 1-line block ×4, first 2 shown]
	s_wait_dscnt 0x2
	v_mul_f16_e32 v39, v26, v34
	s_wait_dscnt 0x0
	v_mul_f16_e32 v40, v27, v35
	v_mul_f16_e32 v34, v16, v34
	;; [unrolled: 1-line block ×9, first 2 shown]
	v_fma_f16 v16, v16, v32, -v39
	v_fma_f16 v17, v17, v9, -v40
	v_fmac_f16_e32 v34, v26, v32
	v_fmac_f16_e32 v35, v27, v9
	v_fma_f16 v18, v18, v31, -v36
	v_fma_f16 v19, v19, v33, -v37
	v_fmac_f16_e32 v2, v28, v31
	v_fmac_f16_e32 v5, v29, v33
	v_fma_f16 v15, v15, v30, -v38
	v_fmac_f16_e32 v6, v25, v30
	v_add_f16_e32 v26, v16, v17
	v_add_f16_e32 v29, v34, v35
	v_sub_f16_e32 v9, v18, v19
	v_add_f16_e32 v25, v2, v5
	v_sub_f16_e32 v27, v34, v35
	v_sub_f16_e32 v28, v16, v17
	v_add_f16_e32 v30, v24, v2
	v_add_f16_e32 v31, v6, v34
	;; [unrolled: 1-line block ×5, first 2 shown]
	v_fma_f16 v15, -0.5, v26, v15
	v_fma_f16 v6, -0.5, v29, v6
	v_sub_f16_e32 v2, v2, v5
	v_fma_f16 v24, -0.5, v25, v24
	v_add_f16_e32 v5, v30, v5
	v_add_f16_e32 v25, v31, v35
	;; [unrolled: 1-line block ×3, first 2 shown]
	v_fmamk_f16 v19, v27, 0xbaee, v15
	v_fmamk_f16 v26, v28, 0x3aee, v6
	v_fmac_f16_e32 v6, 0xbaee, v28
	v_fmac_f16_e32 v15, 0x3aee, v27
	v_fma_f16 v13, -0.5, v32, v13
	v_add_f16_e32 v16, v16, v17
	v_fmamk_f16 v17, v9, 0x3aee, v24
	v_fmac_f16_e32 v24, 0xbaee, v9
	v_sub_f16_e32 v9, v5, v25
	v_add_f16_e32 v5, v5, v25
	v_mul_f16_e32 v25, -0.5, v26
	v_mul_f16_e32 v28, 0xbaee, v15
	v_mul_f16_e32 v29, 0x3aee, v6
	v_fmamk_f16 v27, v2, 0xbaee, v13
	v_fmac_f16_e32 v13, 0x3aee, v2
	v_sub_f16_e32 v2, v18, v16
	v_add_f16_e32 v16, v18, v16
	v_mul_f16_e32 v18, -0.5, v19
	v_fmac_f16_e32 v25, 0xbaee, v19
	v_fmac_f16_e32 v28, 0.5, v6
	v_fmac_f16_e32 v29, 0.5, v15
	v_pack_b32_f16 v5, v16, v5
	v_fmac_f16_e32 v18, 0x3aee, v26
	v_sub_f16_e32 v6, v17, v25
	v_add_f16_e32 v16, v17, v25
	v_add_f16_e32 v17, v24, v28
	;; [unrolled: 1-line block ×3, first 2 shown]
	v_sub_f16_e32 v15, v24, v28
	v_add_f16_e32 v24, v27, v18
	v_sub_f16_e32 v13, v13, v29
	v_sub_f16_e32 v18, v27, v18
	v_pack_b32_f16 v2, v2, v9
	v_pack_b32_f16 v9, v19, v17
	;; [unrolled: 1-line block ×5, first 2 shown]
	s_clause 0x5
	global_store_b32 v[0:1], v5, off
	global_store_b32 v[0:1], v9, off offset:748
	global_store_b32 v[0:1], v16, off offset:1496
	;; [unrolled: 1-line block ×5, first 2 shown]
	s_and_b32 exec_lo, exec_lo, s0
	s_cbranch_execz .LBB0_22
; %bb.21:
	v_mov_b32_e32 v2, 0x66
	v_lshrrev_b32_e32 v9, 16, v10
	v_lshrrev_b32_e32 v13, 16, v11
	s_delay_alu instid0(VALU_DEP_3) | instskip(NEXT) | instid1(VALU_DEP_1)
	v_cndmask_b32_e64 v2, 0xffffffab, v2, s0
	v_add_nc_u32_e32 v2, v3, v2
	s_delay_alu instid0(VALU_DEP_1) | instskip(NEXT) | instid1(VALU_DEP_1)
	v_mul_i32_i24_e32 v3, 5, v2
	v_lshlrev_b64_e32 v[2:3], 2, v[3:4]
	s_delay_alu instid0(VALU_DEP_1) | instskip(SKIP_1) | instid1(VALU_DEP_2)
	v_add_co_u32 v15, vcc_lo, s4, v2
	s_wait_alu 0xfffd
	v_add_co_ci_u32_e32 v16, vcc_lo, s5, v3, vcc_lo
	s_clause 0x1
	global_load_b128 v[2:5], v[15:16], off offset:680
	global_load_b32 v6, v[15:16], off offset:696
	s_wait_loadcnt 0x1
	v_lshrrev_b32_e32 v15, 16, v2
	v_lshrrev_b32_e32 v16, 16, v3
	;; [unrolled: 1-line block ×4, first 2 shown]
	s_wait_loadcnt 0x0
	v_lshrrev_b32_e32 v19, 16, v6
	v_mul_f16_e32 v24, v21, v15
	v_mul_f16_e32 v15, v9, v15
	;; [unrolled: 1-line block ×10, first 2 shown]
	v_fma_f16 v9, v9, v2, -v24
	v_fmac_f16_e32 v15, v21, v2
	v_fma_f16 v2, v11, v3, -v25
	v_fmac_f16_e32 v16, v22, v3
	;; [unrolled: 2-line block ×5, first 2 shown]
	v_add_f16_e32 v11, v14, v16
	v_add_f16_e32 v7, v2, v4
	v_sub_f16_e32 v8, v16, v18
	v_add_f16_e32 v12, v16, v18
	v_add_f16_e32 v16, v3, v5
	v_sub_f16_e32 v20, v17, v19
	v_add_f16_e32 v21, v15, v17
	v_add_f16_e32 v17, v17, v19
	;; [unrolled: 1-line block ×3, first 2 shown]
	v_sub_f16_e32 v2, v2, v4
	v_add_f16_e32 v13, v9, v3
	v_sub_f16_e32 v3, v3, v5
	v_fmac_f16_e32 v10, -0.5, v7
	v_fmac_f16_e32 v14, -0.5, v12
	;; [unrolled: 1-line block ×4, first 2 shown]
	v_add_f16_e32 v4, v6, v4
	v_add_f16_e32 v6, v11, v18
	;; [unrolled: 1-line block ×3, first 2 shown]
	v_fmamk_f16 v11, v8, 0x3aee, v10
	v_fmac_f16_e32 v10, 0xbaee, v8
	v_fmamk_f16 v8, v2, 0xbaee, v14
	v_fmac_f16_e32 v14, 0x3aee, v2
	v_fmamk_f16 v2, v20, 0x3aee, v9
	v_fmamk_f16 v12, v3, 0xbaee, v15
	v_fmac_f16_e32 v9, 0xbaee, v20
	v_fmac_f16_e32 v15, 0x3aee, v3
	v_add_f16_e32 v7, v21, v19
	v_add_f16_e32 v3, v4, v5
	v_sub_f16_e32 v4, v4, v5
	v_mul_f16_e32 v5, 0x3aee, v12
	v_mul_f16_e32 v17, 0xbaee, v2
	v_mul_f16_e32 v16, -0.5, v9
	v_mul_f16_e32 v18, -0.5, v15
	v_add_f16_e32 v13, v6, v7
	v_fmac_f16_e32 v5, 0.5, v2
	v_fmac_f16_e32 v17, 0.5, v12
	v_fmac_f16_e32 v16, 0x3aee, v15
	v_fmac_f16_e32 v18, 0xbaee, v9
	v_pack_b32_f16 v2, v3, v13
	v_add_f16_e32 v3, v11, v5
	v_add_f16_e32 v9, v8, v17
	v_sub_f16_e32 v6, v6, v7
	v_add_f16_e32 v7, v10, v16
	v_add_f16_e32 v12, v14, v18
	v_sub_f16_e32 v5, v11, v5
	v_sub_f16_e32 v8, v8, v17
	;; [unrolled: 1-line block ×4, first 2 shown]
	v_pack_b32_f16 v3, v3, v9
	v_pack_b32_f16 v4, v4, v6
	;; [unrolled: 1-line block ×5, first 2 shown]
	s_clause 0x5
	global_store_b32 v[0:1], v2, off offset:408
	global_store_b32 v[0:1], v3, off offset:1156
	;; [unrolled: 1-line block ×6, first 2 shown]
.LBB0_22:
	s_nop 0
	s_sendmsg sendmsg(MSG_DEALLOC_VGPRS)
	s_endpgm
	.section	.rodata,"a",@progbits
	.p2align	6, 0x0
	.amdhsa_kernel fft_rtc_fwd_len1122_factors_17_11_6_wgs_204_tpt_102_halfLds_half_op_CI_CI_unitstride_sbrr_dirReg
		.amdhsa_group_segment_fixed_size 0
		.amdhsa_private_segment_fixed_size 0
		.amdhsa_kernarg_size 104
		.amdhsa_user_sgpr_count 2
		.amdhsa_user_sgpr_dispatch_ptr 0
		.amdhsa_user_sgpr_queue_ptr 0
		.amdhsa_user_sgpr_kernarg_segment_ptr 1
		.amdhsa_user_sgpr_dispatch_id 0
		.amdhsa_user_sgpr_private_segment_size 0
		.amdhsa_wavefront_size32 1
		.amdhsa_uses_dynamic_stack 0
		.amdhsa_enable_private_segment 0
		.amdhsa_system_sgpr_workgroup_id_x 1
		.amdhsa_system_sgpr_workgroup_id_y 0
		.amdhsa_system_sgpr_workgroup_id_z 0
		.amdhsa_system_sgpr_workgroup_info 0
		.amdhsa_system_vgpr_workitem_id 0
		.amdhsa_next_free_vgpr 105
		.amdhsa_next_free_sgpr 39
		.amdhsa_reserve_vcc 1
		.amdhsa_float_round_mode_32 0
		.amdhsa_float_round_mode_16_64 0
		.amdhsa_float_denorm_mode_32 3
		.amdhsa_float_denorm_mode_16_64 3
		.amdhsa_fp16_overflow 0
		.amdhsa_workgroup_processor_mode 1
		.amdhsa_memory_ordered 1
		.amdhsa_forward_progress 0
		.amdhsa_round_robin_scheduling 0
		.amdhsa_exception_fp_ieee_invalid_op 0
		.amdhsa_exception_fp_denorm_src 0
		.amdhsa_exception_fp_ieee_div_zero 0
		.amdhsa_exception_fp_ieee_overflow 0
		.amdhsa_exception_fp_ieee_underflow 0
		.amdhsa_exception_fp_ieee_inexact 0
		.amdhsa_exception_int_div_zero 0
	.end_amdhsa_kernel
	.text
.Lfunc_end0:
	.size	fft_rtc_fwd_len1122_factors_17_11_6_wgs_204_tpt_102_halfLds_half_op_CI_CI_unitstride_sbrr_dirReg, .Lfunc_end0-fft_rtc_fwd_len1122_factors_17_11_6_wgs_204_tpt_102_halfLds_half_op_CI_CI_unitstride_sbrr_dirReg
                                        ; -- End function
	.section	.AMDGPU.csdata,"",@progbits
; Kernel info:
; codeLenInByte = 10752
; NumSgprs: 41
; NumVgprs: 105
; ScratchSize: 0
; MemoryBound: 0
; FloatMode: 240
; IeeeMode: 1
; LDSByteSize: 0 bytes/workgroup (compile time only)
; SGPRBlocks: 5
; VGPRBlocks: 13
; NumSGPRsForWavesPerEU: 41
; NumVGPRsForWavesPerEU: 105
; Occupancy: 12
; WaveLimiterHint : 1
; COMPUTE_PGM_RSRC2:SCRATCH_EN: 0
; COMPUTE_PGM_RSRC2:USER_SGPR: 2
; COMPUTE_PGM_RSRC2:TRAP_HANDLER: 0
; COMPUTE_PGM_RSRC2:TGID_X_EN: 1
; COMPUTE_PGM_RSRC2:TGID_Y_EN: 0
; COMPUTE_PGM_RSRC2:TGID_Z_EN: 0
; COMPUTE_PGM_RSRC2:TIDIG_COMP_CNT: 0
	.text
	.p2alignl 7, 3214868480
	.fill 96, 4, 3214868480
	.type	__hip_cuid_c824d1424c18661e,@object ; @__hip_cuid_c824d1424c18661e
	.section	.bss,"aw",@nobits
	.globl	__hip_cuid_c824d1424c18661e
__hip_cuid_c824d1424c18661e:
	.byte	0                               ; 0x0
	.size	__hip_cuid_c824d1424c18661e, 1

	.ident	"AMD clang version 19.0.0git (https://github.com/RadeonOpenCompute/llvm-project roc-6.4.0 25133 c7fe45cf4b819c5991fe208aaa96edf142730f1d)"
	.section	".note.GNU-stack","",@progbits
	.addrsig
	.addrsig_sym __hip_cuid_c824d1424c18661e
	.amdgpu_metadata
---
amdhsa.kernels:
  - .args:
      - .actual_access:  read_only
        .address_space:  global
        .offset:         0
        .size:           8
        .value_kind:     global_buffer
      - .offset:         8
        .size:           8
        .value_kind:     by_value
      - .actual_access:  read_only
        .address_space:  global
        .offset:         16
        .size:           8
        .value_kind:     global_buffer
      - .actual_access:  read_only
        .address_space:  global
        .offset:         24
        .size:           8
        .value_kind:     global_buffer
      - .actual_access:  read_only
        .address_space:  global
        .offset:         32
        .size:           8
        .value_kind:     global_buffer
      - .offset:         40
        .size:           8
        .value_kind:     by_value
      - .actual_access:  read_only
        .address_space:  global
        .offset:         48
        .size:           8
        .value_kind:     global_buffer
      - .actual_access:  read_only
        .address_space:  global
        .offset:         56
        .size:           8
        .value_kind:     global_buffer
      - .offset:         64
        .size:           4
        .value_kind:     by_value
      - .actual_access:  read_only
        .address_space:  global
        .offset:         72
        .size:           8
        .value_kind:     global_buffer
      - .actual_access:  read_only
        .address_space:  global
        .offset:         80
        .size:           8
        .value_kind:     global_buffer
      - .actual_access:  read_only
        .address_space:  global
        .offset:         88
        .size:           8
        .value_kind:     global_buffer
      - .actual_access:  write_only
        .address_space:  global
        .offset:         96
        .size:           8
        .value_kind:     global_buffer
    .group_segment_fixed_size: 0
    .kernarg_segment_align: 8
    .kernarg_segment_size: 104
    .language:       OpenCL C
    .language_version:
      - 2
      - 0
    .max_flat_workgroup_size: 204
    .name:           fft_rtc_fwd_len1122_factors_17_11_6_wgs_204_tpt_102_halfLds_half_op_CI_CI_unitstride_sbrr_dirReg
    .private_segment_fixed_size: 0
    .sgpr_count:     41
    .sgpr_spill_count: 0
    .symbol:         fft_rtc_fwd_len1122_factors_17_11_6_wgs_204_tpt_102_halfLds_half_op_CI_CI_unitstride_sbrr_dirReg.kd
    .uniform_work_group_size: 1
    .uses_dynamic_stack: false
    .vgpr_count:     105
    .vgpr_spill_count: 0
    .wavefront_size: 32
    .workgroup_processor_mode: 1
amdhsa.target:   amdgcn-amd-amdhsa--gfx1201
amdhsa.version:
  - 1
  - 2
...

	.end_amdgpu_metadata
